;; amdgpu-corpus repo=ROCm/rocFFT kind=compiled arch=gfx950 opt=O3
	.text
	.amdgcn_target "amdgcn-amd-amdhsa--gfx950"
	.amdhsa_code_object_version 6
	.protected	fft_rtc_back_len528_factors_4_4_3_11_wgs_48_tpt_48_halfLds_dp_op_CI_CI_sbrr_dirReg ; -- Begin function fft_rtc_back_len528_factors_4_4_3_11_wgs_48_tpt_48_halfLds_dp_op_CI_CI_sbrr_dirReg
	.globl	fft_rtc_back_len528_factors_4_4_3_11_wgs_48_tpt_48_halfLds_dp_op_CI_CI_sbrr_dirReg
	.p2align	8
	.type	fft_rtc_back_len528_factors_4_4_3_11_wgs_48_tpt_48_halfLds_dp_op_CI_CI_sbrr_dirReg,@function
fft_rtc_back_len528_factors_4_4_3_11_wgs_48_tpt_48_halfLds_dp_op_CI_CI_sbrr_dirReg: ; @fft_rtc_back_len528_factors_4_4_3_11_wgs_48_tpt_48_halfLds_dp_op_CI_CI_sbrr_dirReg
; %bb.0:
	s_load_dwordx4 s[12:15], s[0:1], 0x18
	s_load_dwordx4 s[8:11], s[0:1], 0x0
	;; [unrolled: 1-line block ×3, first 2 shown]
	v_mul_u32_u24_e32 v1, 0x556, v0
	v_add_u32_sdwa v6, s2, v1 dst_sel:DWORD dst_unused:UNUSED_PAD src0_sel:DWORD src1_sel:WORD_1
	s_waitcnt lgkmcnt(0)
	s_load_dwordx2 s[18:19], s[12:13], 0x0
	s_load_dwordx2 s[16:17], s[14:15], 0x0
	v_mov_b32_e32 v4, 0
	v_cmp_lt_u64_e64 s[2:3], s[10:11], 2
	v_mov_b32_e32 v7, v4
	s_and_b64 vcc, exec, s[2:3]
	v_mov_b64_e32 v[2:3], 0
	s_cbranch_vccnz .LBB0_8
; %bb.1:
	s_load_dwordx2 s[2:3], s[0:1], 0x10
	s_add_u32 s20, s14, 8
	s_addc_u32 s21, s15, 0
	s_add_u32 s22, s12, 8
	s_addc_u32 s23, s13, 0
	s_waitcnt lgkmcnt(0)
	s_add_u32 s24, s2, 8
	v_mov_b64_e32 v[2:3], 0
	s_addc_u32 s25, s3, 0
	s_mov_b64 s[26:27], 1
	v_mov_b64_e32 v[56:57], v[2:3]
.LBB0_2:                                ; =>This Inner Loop Header: Depth=1
	s_load_dwordx2 s[28:29], s[24:25], 0x0
                                        ; implicit-def: $vgpr58_vgpr59
	s_waitcnt lgkmcnt(0)
	v_or_b32_e32 v5, s29, v7
	v_cmp_ne_u64_e32 vcc, 0, v[4:5]
	s_and_saveexec_b64 s[2:3], vcc
	s_xor_b64 s[30:31], exec, s[2:3]
	s_cbranch_execz .LBB0_4
; %bb.3:                                ;   in Loop: Header=BB0_2 Depth=1
	v_cvt_f32_u32_e32 v1, s28
	v_cvt_f32_u32_e32 v5, s29
	s_sub_u32 s2, 0, s28
	s_subb_u32 s3, 0, s29
	v_fmac_f32_e32 v1, 0x4f800000, v5
	v_rcp_f32_e32 v1, v1
	s_nop 0
	v_mul_f32_e32 v1, 0x5f7ffffc, v1
	v_mul_f32_e32 v5, 0x2f800000, v1
	v_trunc_f32_e32 v5, v5
	v_fmac_f32_e32 v1, 0xcf800000, v5
	v_cvt_u32_f32_e32 v5, v5
	v_cvt_u32_f32_e32 v1, v1
	v_mul_lo_u32 v8, s2, v5
	v_mul_hi_u32 v10, s2, v1
	v_mul_lo_u32 v9, s3, v1
	v_add_u32_e32 v10, v10, v8
	v_mul_lo_u32 v12, s2, v1
	v_add_u32_e32 v13, v10, v9
	v_mul_hi_u32 v8, v1, v12
	v_mul_hi_u32 v11, v1, v13
	v_mul_lo_u32 v10, v1, v13
	v_mov_b32_e32 v9, v4
	v_lshl_add_u64 v[8:9], v[8:9], 0, v[10:11]
	v_mul_hi_u32 v11, v5, v12
	v_mul_lo_u32 v12, v5, v12
	v_add_co_u32_e32 v8, vcc, v8, v12
	v_mul_hi_u32 v10, v5, v13
	s_nop 0
	v_addc_co_u32_e32 v8, vcc, v9, v11, vcc
	v_mov_b32_e32 v9, v4
	s_nop 0
	v_addc_co_u32_e32 v11, vcc, 0, v10, vcc
	v_mul_lo_u32 v10, v5, v13
	v_lshl_add_u64 v[8:9], v[8:9], 0, v[10:11]
	v_add_co_u32_e32 v1, vcc, v1, v8
	v_mul_lo_u32 v10, s2, v1
	s_nop 0
	v_addc_co_u32_e32 v5, vcc, v5, v9, vcc
	v_mul_lo_u32 v8, s2, v5
	v_mul_hi_u32 v9, s2, v1
	v_add_u32_e32 v8, v9, v8
	v_mul_lo_u32 v9, s3, v1
	v_add_u32_e32 v12, v8, v9
	v_mul_hi_u32 v14, v5, v10
	v_mul_lo_u32 v15, v5, v10
	v_mul_hi_u32 v9, v1, v12
	v_mul_lo_u32 v8, v1, v12
	v_mul_hi_u32 v10, v1, v10
	v_mov_b32_e32 v11, v4
	v_lshl_add_u64 v[8:9], v[10:11], 0, v[8:9]
	v_add_co_u32_e32 v8, vcc, v8, v15
	v_mul_hi_u32 v13, v5, v12
	s_nop 0
	v_addc_co_u32_e32 v8, vcc, v9, v14, vcc
	v_mul_lo_u32 v10, v5, v12
	s_nop 0
	v_addc_co_u32_e32 v11, vcc, 0, v13, vcc
	v_mov_b32_e32 v9, v4
	v_lshl_add_u64 v[8:9], v[8:9], 0, v[10:11]
	v_add_co_u32_e32 v1, vcc, v1, v8
	v_mul_hi_u32 v10, v6, v1
	s_nop 0
	v_addc_co_u32_e32 v5, vcc, v5, v9, vcc
	v_mad_u64_u32 v[8:9], s[2:3], v6, v5, 0
	v_mov_b32_e32 v11, v4
	v_lshl_add_u64 v[8:9], v[10:11], 0, v[8:9]
	v_mad_u64_u32 v[12:13], s[2:3], v7, v1, 0
	v_add_co_u32_e32 v1, vcc, v8, v12
	v_mad_u64_u32 v[10:11], s[2:3], v7, v5, 0
	s_nop 0
	v_addc_co_u32_e32 v8, vcc, v9, v13, vcc
	v_mov_b32_e32 v9, v4
	s_nop 0
	v_addc_co_u32_e32 v11, vcc, 0, v11, vcc
	v_lshl_add_u64 v[8:9], v[8:9], 0, v[10:11]
	v_mul_lo_u32 v1, s29, v8
	v_mul_lo_u32 v5, s28, v9
	v_mad_u64_u32 v[10:11], s[2:3], s28, v8, 0
	v_add3_u32 v1, v11, v5, v1
	v_sub_u32_e32 v5, v7, v1
	v_mov_b32_e32 v11, s29
	v_sub_co_u32_e32 v14, vcc, v6, v10
	v_lshl_add_u64 v[12:13], v[8:9], 0, 1
	s_nop 0
	v_subb_co_u32_e64 v5, s[2:3], v5, v11, vcc
	v_subrev_co_u32_e64 v10, s[2:3], s28, v14
	v_subb_co_u32_e32 v1, vcc, v7, v1, vcc
	s_nop 0
	v_subbrev_co_u32_e64 v5, s[2:3], 0, v5, s[2:3]
	v_cmp_le_u32_e64 s[2:3], s29, v5
	v_cmp_le_u32_e32 vcc, s29, v1
	s_nop 0
	v_cndmask_b32_e64 v11, 0, -1, s[2:3]
	v_cmp_le_u32_e64 s[2:3], s28, v10
	s_nop 1
	v_cndmask_b32_e64 v10, 0, -1, s[2:3]
	v_cmp_eq_u32_e64 s[2:3], s29, v5
	s_nop 1
	v_cndmask_b32_e64 v5, v11, v10, s[2:3]
	v_lshl_add_u64 v[10:11], v[8:9], 0, 2
	v_cmp_ne_u32_e64 s[2:3], 0, v5
	s_nop 1
	v_cndmask_b32_e64 v5, v13, v11, s[2:3]
	v_cndmask_b32_e64 v11, 0, -1, vcc
	v_cmp_le_u32_e32 vcc, s28, v14
	s_nop 1
	v_cndmask_b32_e64 v13, 0, -1, vcc
	v_cmp_eq_u32_e32 vcc, s29, v1
	s_nop 1
	v_cndmask_b32_e32 v1, v11, v13, vcc
	v_cmp_ne_u32_e32 vcc, 0, v1
	v_cndmask_b32_e64 v1, v12, v10, s[2:3]
	s_nop 0
	v_cndmask_b32_e32 v59, v9, v5, vcc
	v_cndmask_b32_e32 v58, v8, v1, vcc
.LBB0_4:                                ;   in Loop: Header=BB0_2 Depth=1
	s_andn2_saveexec_b64 s[2:3], s[30:31]
	s_cbranch_execz .LBB0_6
; %bb.5:                                ;   in Loop: Header=BB0_2 Depth=1
	v_cvt_f32_u32_e32 v1, s28
	s_sub_i32 s30, 0, s28
	v_mov_b32_e32 v59, v4
	v_rcp_iflag_f32_e32 v1, v1
	s_nop 0
	v_mul_f32_e32 v1, 0x4f7ffffe, v1
	v_cvt_u32_f32_e32 v1, v1
	v_mul_lo_u32 v5, s30, v1
	v_mul_hi_u32 v5, v1, v5
	v_add_u32_e32 v1, v1, v5
	v_mul_hi_u32 v1, v6, v1
	v_mul_lo_u32 v5, v1, s28
	v_sub_u32_e32 v5, v6, v5
	v_add_u32_e32 v8, 1, v1
	v_subrev_u32_e32 v9, s28, v5
	v_cmp_le_u32_e32 vcc, s28, v5
	s_nop 1
	v_cndmask_b32_e32 v5, v5, v9, vcc
	v_cndmask_b32_e32 v1, v1, v8, vcc
	v_add_u32_e32 v8, 1, v1
	v_cmp_le_u32_e32 vcc, s28, v5
	s_nop 1
	v_cndmask_b32_e32 v58, v1, v8, vcc
.LBB0_6:                                ;   in Loop: Header=BB0_2 Depth=1
	s_or_b64 exec, exec, s[2:3]
	v_mad_u64_u32 v[8:9], s[2:3], v58, s28, 0
	s_load_dwordx2 s[2:3], s[22:23], 0x0
	v_mul_lo_u32 v1, v59, s28
	v_mul_lo_u32 v5, v58, s29
	s_load_dwordx2 s[28:29], s[20:21], 0x0
	s_add_u32 s26, s26, 1
	v_add3_u32 v1, v9, v5, v1
	v_sub_co_u32_e32 v5, vcc, v6, v8
	s_addc_u32 s27, s27, 0
	s_nop 0
	v_subb_co_u32_e32 v1, vcc, v7, v1, vcc
	s_add_u32 s20, s20, 8
	s_waitcnt lgkmcnt(0)
	v_mul_lo_u32 v6, s2, v1
	v_mul_lo_u32 v7, s3, v5
	v_mad_u64_u32 v[2:3], s[2:3], s2, v5, v[2:3]
	s_addc_u32 s21, s21, 0
	v_add3_u32 v3, v7, v3, v6
	v_mul_lo_u32 v1, s28, v1
	v_mul_lo_u32 v6, s29, v5
	v_mad_u64_u32 v[56:57], s[2:3], s28, v5, v[56:57]
	s_add_u32 s22, s22, 8
	v_add3_u32 v57, v6, v57, v1
	s_addc_u32 s23, s23, 0
	v_mov_b64_e32 v[6:7], s[10:11]
	s_add_u32 s24, s24, 8
	v_cmp_ge_u64_e32 vcc, s[26:27], v[6:7]
	s_addc_u32 s25, s25, 0
	s_cbranch_vccnz .LBB0_9
; %bb.7:                                ;   in Loop: Header=BB0_2 Depth=1
	v_mov_b64_e32 v[6:7], v[58:59]
	s_branch .LBB0_2
.LBB0_8:
	v_mov_b64_e32 v[56:57], v[2:3]
	v_mov_b64_e32 v[58:59], v[6:7]
.LBB0_9:
	s_load_dwordx2 s[0:1], s[0:1], 0x28
	s_lshl_b64 s[20:21], s[10:11], 3
	s_add_u32 s10, s14, s20
	s_addc_u32 s11, s15, s21
                                        ; implicit-def: $sgpr14
                                        ; implicit-def: $vgpr70
                                        ; implicit-def: $vgpr71
	s_waitcnt lgkmcnt(0)
	v_cmp_gt_u64_e32 vcc, s[0:1], v[58:59]
	v_cmp_le_u64_e64 s[0:1], s[0:1], v[58:59]
	s_and_saveexec_b64 s[2:3], s[0:1]
	s_xor_b64 s[0:1], exec, s[2:3]
; %bb.10:
	s_mov_b32 s2, 0x5555556
	v_mul_hi_u32 v1, v0, s2
	v_mul_u32_u24_e32 v1, 48, v1
	v_sub_u32_e32 v70, v0, v1
	v_add_u32_e32 v71, 48, v70
	s_mov_b32 s14, 0
                                        ; implicit-def: $vgpr0
                                        ; implicit-def: $vgpr2_vgpr3
; %bb.11:
	s_or_saveexec_b64 s[2:3], s[0:1]
	s_load_dwordx2 s[10:11], s[10:11], 0x0
	v_mov_b32_e32 v112, s14
                                        ; implicit-def: $vgpr4_vgpr5
                                        ; implicit-def: $vgpr12_vgpr13
                                        ; implicit-def: $vgpr22_vgpr23
                                        ; implicit-def: $vgpr32_vgpr33
                                        ; implicit-def: $vgpr40_vgpr41
                                        ; implicit-def: $vgpr46_vgpr47
                                        ; implicit-def: $vgpr54_vgpr55
                                        ; implicit-def: $vgpr36_vgpr37
                                        ; implicit-def: $vgpr50_vgpr51
                                        ; implicit-def: $vgpr26_vgpr27
                                        ; implicit-def: $vgpr16_vgpr17
                                        ; implicit-def: $vgpr8_vgpr9
	s_xor_b64 exec, exec, s[2:3]
	s_cbranch_execz .LBB0_15
; %bb.12:
	s_add_u32 s0, s12, s20
	s_addc_u32 s1, s13, s21
	s_load_dwordx2 s[0:1], s[0:1], 0x0
	s_mov_b32 s12, 0x5555556
                                        ; implicit-def: $vgpr34_vgpr35
                                        ; implicit-def: $vgpr52_vgpr53
                                        ; implicit-def: $vgpr44_vgpr45
                                        ; implicit-def: $vgpr38_vgpr39
	s_waitcnt lgkmcnt(0)
	v_mul_lo_u32 v1, s1, v58
	v_mul_lo_u32 v6, s0, v59
	v_mad_u64_u32 v[4:5], s[0:1], s0, v58, 0
	v_add3_u32 v5, v5, v6, v1
	v_mul_hi_u32 v1, v0, s12
	v_mul_u32_u24_e32 v1, 48, v1
	v_sub_u32_e32 v70, v0, v1
	v_mad_u64_u32 v[6:7], s[0:1], s18, v70, 0
	v_mov_b32_e32 v0, v7
	v_mad_u64_u32 v[0:1], s[0:1], s19, v70, v[0:1]
	v_mov_b32_e32 v7, v0
	v_lshl_add_u64 v[0:1], v[4:5], 4, s[4:5]
	v_add_u32_e32 v5, 0x84, v70
	v_lshl_add_u64 v[0:1], v[2:3], 4, v[0:1]
	v_mad_u64_u32 v[2:3], s[0:1], s18, v5, 0
	v_mov_b32_e32 v4, v3
	v_mad_u64_u32 v[4:5], s[0:1], s19, v5, v[4:5]
	v_mov_b32_e32 v3, v4
	v_lshl_add_u64 v[10:11], v[6:7], 4, v[0:1]
	v_lshl_add_u64 v[12:13], v[2:3], 4, v[0:1]
	global_load_dwordx4 v[6:9], v[10:11], off
	global_load_dwordx4 v[2:5], v[12:13], off
	v_add_u32_e32 v13, 0x108, v70
	v_mad_u64_u32 v[10:11], s[0:1], s18, v13, 0
	v_mov_b32_e32 v12, v11
	v_mad_u64_u32 v[12:13], s[0:1], s19, v13, v[12:13]
	v_mov_b32_e32 v11, v12
	v_add_u32_e32 v13, 0x18c, v70
	v_lshl_add_u64 v[18:19], v[10:11], 4, v[0:1]
	v_mad_u64_u32 v[10:11], s[0:1], s18, v13, 0
	v_mov_b32_e32 v12, v11
	v_mad_u64_u32 v[12:13], s[0:1], s19, v13, v[12:13]
	v_mov_b32_e32 v11, v12
	v_add_u32_e32 v71, 48, v70
	v_lshl_add_u64 v[20:21], v[10:11], 4, v[0:1]
	global_load_dwordx4 v[10:13], v[18:19], off
	global_load_dwordx4 v[14:17], v[20:21], off
	v_mad_u64_u32 v[18:19], s[0:1], s18, v71, 0
	v_mov_b32_e32 v20, v19
	v_mad_u64_u32 v[20:21], s[0:1], s19, v71, v[20:21]
	v_add_u32_e32 v23, 0xb4, v70
	v_mov_b32_e32 v19, v20
	v_mad_u64_u32 v[20:21], s[0:1], s18, v23, 0
	v_mov_b32_e32 v22, v21
	v_mad_u64_u32 v[22:23], s[0:1], s19, v23, v[22:23]
	v_mov_b32_e32 v21, v22
	v_lshl_add_u64 v[18:19], v[18:19], 4, v[0:1]
	v_lshl_add_u64 v[28:29], v[20:21], 4, v[0:1]
	global_load_dwordx4 v[24:27], v[18:19], off
	global_load_dwordx4 v[20:23], v[28:29], off
	v_add_u32_e32 v29, 0x138, v70
	v_mad_u64_u32 v[18:19], s[0:1], s18, v29, 0
	v_mov_b32_e32 v28, v19
	v_mad_u64_u32 v[28:29], s[0:1], s19, v29, v[28:29]
	v_add_u32_e32 v31, 0x1bc, v70
	v_mov_b32_e32 v19, v28
	v_mad_u64_u32 v[28:29], s[0:1], s18, v31, 0
	v_mov_b32_e32 v30, v29
	v_mad_u64_u32 v[30:31], s[0:1], s19, v31, v[30:31]
	v_lshl_add_u64 v[18:19], v[18:19], 4, v[0:1]
	v_mov_b32_e32 v29, v30
	v_lshl_add_u64 v[28:29], v[28:29], 4, v[0:1]
	global_load_dwordx4 v[30:33], v[18:19], off
	global_load_dwordx4 v[48:51], v[28:29], off
	v_cmp_gt_u32_e64 s[0:1], 36, v70
	s_and_saveexec_b64 s[4:5], s[0:1]
	s_cbranch_execz .LBB0_14
; %bb.13:
	v_add_u32_e32 v29, 0x60, v70
	v_mad_u64_u32 v[18:19], s[0:1], s18, v29, 0
	v_mov_b32_e32 v28, v19
	v_mad_u64_u32 v[28:29], s[0:1], s19, v29, v[28:29]
	v_add_u32_e32 v35, 0xe4, v70
	v_mov_b32_e32 v19, v28
	v_mad_u64_u32 v[28:29], s[0:1], s18, v35, 0
	v_mov_b32_e32 v34, v29
	v_mad_u64_u32 v[34:35], s[0:1], s19, v35, v[34:35]
	v_mov_b32_e32 v29, v34
	v_lshl_add_u64 v[18:19], v[18:19], 4, v[0:1]
	v_lshl_add_u64 v[28:29], v[28:29], 4, v[0:1]
	global_load_dwordx4 v[34:37], v[18:19], off
	global_load_dwordx4 v[38:41], v[28:29], off
	v_add_u32_e32 v29, 0x168, v70
	v_mad_u64_u32 v[18:19], s[0:1], s18, v29, 0
	v_mov_b32_e32 v28, v19
	v_mad_u64_u32 v[28:29], s[0:1], s19, v29, v[28:29]
	v_add_u32_e32 v43, 0x1ec, v70
	v_mov_b32_e32 v19, v28
	v_mad_u64_u32 v[28:29], s[0:1], s18, v43, 0
	v_mov_b32_e32 v42, v29
	v_mad_u64_u32 v[42:43], s[0:1], s19, v43, v[42:43]
	v_lshl_add_u64 v[18:19], v[18:19], 4, v[0:1]
	v_mov_b32_e32 v29, v42
	v_lshl_add_u64 v[0:1], v[28:29], 4, v[0:1]
	global_load_dwordx4 v[44:47], v[18:19], off
	global_load_dwordx4 v[52:55], v[0:1], off
.LBB0_14:
	s_or_b64 exec, exec, s[4:5]
	v_mov_b32_e32 v112, v70
.LBB0_15:
	s_or_b64 exec, exec, s[2:3]
	s_waitcnt vmcnt(5)
	v_add_f64 v[18:19], v[6:7], -v[10:11]
	v_fma_f64 v[28:29], v[6:7], 2.0, -v[18:19]
	s_waitcnt vmcnt(4)
	v_add_f64 v[6:7], v[2:3], -v[14:15]
	v_add_f64 v[10:11], v[4:5], -v[16:17]
	v_fma_f64 v[0:1], v[2:3], 2.0, -v[6:7]
	v_add_f64 v[0:1], v[28:29], -v[0:1]
	v_add_f64 v[2:3], v[10:11], v[18:19]
	v_fma_f64 v[14:15], v[28:29], 2.0, -v[0:1]
	v_fma_f64 v[16:17], v[18:19], 2.0, -v[2:3]
	v_lshl_add_u32 v63, v70, 5, 0
	ds_write_b128 v63, v[14:17]
	s_waitcnt vmcnt(1)
	v_add_f64 v[16:17], v[24:25], -v[30:31]
	s_waitcnt vmcnt(0)
	v_add_f64 v[48:49], v[20:21], -v[48:49]
	v_add_f64 v[60:61], v[22:23], -v[50:51]
	v_fma_f64 v[14:15], v[24:25], 2.0, -v[16:17]
	ds_write_b128 v63, v[0:3] offset:16
	v_fma_f64 v[0:1], v[20:21], 2.0, -v[48:49]
	v_add_f64 v[0:1], v[14:15], -v[0:1]
	v_add_f64 v[2:3], v[60:61], v[16:17]
	v_fma_f64 v[14:15], v[14:15], 2.0, -v[0:1]
	v_fma_f64 v[16:17], v[16:17], 2.0, -v[2:3]
	v_lshl_add_u32 v62, v71, 5, 0
	ds_write_b128 v62, v[14:17]
	v_add_f64 v[14:15], v[34:35], -v[44:45]
	v_add_f64 v[24:25], v[38:39], -v[52:53]
	;; [unrolled: 1-line block ×3, first 2 shown]
	v_fma_f64 v[16:17], v[34:35], 2.0, -v[14:15]
	ds_write_b128 v62, v[0:3] offset:16
	v_fma_f64 v[0:1], v[38:39], 2.0, -v[24:25]
	v_add_f64 v[0:1], v[16:17], -v[0:1]
	v_add_f64 v[2:3], v[54:55], v[14:15]
	v_add_u32_e32 v74, 0x60, v70
	v_fma_f64 v[28:29], v[16:17], 2.0, -v[0:1]
	v_fma_f64 v[30:31], v[14:15], 2.0, -v[2:3]
	v_cmp_gt_u32_e64 s[0:1], 36, v70
	v_lshl_add_u32 v34, v74, 5, 0
	s_and_saveexec_b64 s[2:3], s[0:1]
	s_cbranch_execz .LBB0_17
; %bb.16:
	ds_write_b128 v34, v[28:31]
	ds_write_b128 v34, v[0:3] offset:16
.LBB0_17:
	s_or_b64 exec, exec, s[2:3]
	s_movk_i32 s2, 0xffe8
	v_mad_i32_i24 v35, v70, s2, v63
	v_add_u32_e32 v14, 0x400, v35
	v_add_u32_e32 v18, 0x800, v35
	v_mad_i32_i24 v38, v71, s2, v62
	s_waitcnt lgkmcnt(0)
	; wave barrier
	s_waitcnt lgkmcnt(0)
	ds_read2_b64 v[42:45], v35 offset1:132
	ds_read2_b64 v[14:17], v14 offset0:52 offset1:136
	ds_read2_b64 v[18:21], v18 offset0:56 offset1:140
	ds_read_b64 v[50:51], v38
	ds_read_b64 v[52:53], v35 offset:3552
	v_mul_i32_i24_e32 v35, 0xffffffe8, v70
	v_add_u32_e32 v72, v63, v35
	s_and_saveexec_b64 s[2:3], s[0:1]
	s_cbranch_execz .LBB0_19
; %bb.18:
	v_add_u32_e32 v0, 0x800, v72
	ds_read2_b64 v[28:31], v72 offset0:96 offset1:228
	ds_read2_b64 v[0:3], v0 offset0:104 offset1:236
.LBB0_19:
	s_or_b64 exec, exec, s[2:3]
	v_add_f64 v[12:13], v[8:9], -v[12:13]
	v_fma_f64 v[8:9], v[8:9], 2.0, -v[12:13]
	v_fma_f64 v[4:5], v[4:5], 2.0, -v[10:11]
	v_add_f64 v[66:67], v[8:9], -v[4:5]
	v_add_f64 v[4:5], v[26:27], -v[32:33]
	v_fma_f64 v[76:77], v[8:9], 2.0, -v[66:67]
	v_add_f64 v[68:69], v[12:13], -v[6:7]
	v_fma_f64 v[6:7], v[26:27], 2.0, -v[4:5]
	v_fma_f64 v[8:9], v[22:23], 2.0, -v[60:61]
	v_add_f64 v[80:81], v[6:7], -v[8:9]
	v_fma_f64 v[84:85], v[6:7], 2.0, -v[80:81]
	v_add_f64 v[82:83], v[4:5], -v[48:49]
	v_add_f64 v[6:7], v[36:37], -v[46:47]
	v_fma_f64 v[86:87], v[4:5], 2.0, -v[82:83]
	v_fma_f64 v[4:5], v[36:37], 2.0, -v[6:7]
	;; [unrolled: 1-line block ×3, first 2 shown]
	v_add_f64 v[8:9], v[4:5], -v[8:9]
	v_add_f64 v[10:11], v[6:7], -v[24:25]
	v_mul_i32_i24_e32 v64, 0xffffffe8, v71
	v_fma_f64 v[78:79], v[12:13], 2.0, -v[68:69]
	v_fma_f64 v[4:5], v[4:5], 2.0, -v[8:9]
	;; [unrolled: 1-line block ×3, first 2 shown]
	s_waitcnt lgkmcnt(0)
	; wave barrier
	s_waitcnt lgkmcnt(0)
	ds_write_b128 v63, v[76:79]
	ds_write_b128 v63, v[66:69] offset:16
	ds_write_b128 v62, v[84:87]
	ds_write_b128 v62, v[80:83] offset:16
	s_and_saveexec_b64 s[2:3], s[0:1]
	s_cbranch_execz .LBB0_21
; %bb.20:
	ds_write_b128 v34, v[4:7]
	ds_write_b128 v34, v[8:11] offset:16
.LBB0_21:
	s_or_b64 exec, exec, s[2:3]
	v_add_u32_e32 v12, 0x400, v72
	v_add_u32_e32 v40, 0x800, v72
	v_add_u32_e32 v73, v62, v64
	s_waitcnt lgkmcnt(0)
	; wave barrier
	s_waitcnt lgkmcnt(0)
	ds_read2_b64 v[22:25], v72 offset1:132
	ds_read2_b64 v[32:35], v12 offset0:52 offset1:136
	ds_read2_b64 v[36:39], v40 offset0:56 offset1:140
	ds_read_b64 v[54:55], v73
	ds_read_b64 v[12:13], v72 offset:3552
	v_lshlrev_b32_e32 v26, 2, v70
	v_lshlrev_b32_e32 v27, 2, v71
	s_and_saveexec_b64 s[2:3], s[0:1]
	s_cbranch_execz .LBB0_23
; %bb.22:
	ds_read2_b64 v[4:7], v72 offset0:96 offset1:228
	ds_read2_b64 v[8:11], v40 offset0:104 offset1:236
.LBB0_23:
	s_or_b64 exec, exec, s[2:3]
	v_and_b32_e32 v76, 3, v70
	v_mul_u32_u24_e32 v40, 3, v76
	v_lshlrev_b32_e32 v40, 4, v40
	global_load_dwordx4 v[64:67], v40, s[8:9]
	global_load_dwordx4 v[80:83], v40, s[8:9] offset:32
	global_load_dwordx4 v[46:49], v40, s[8:9] offset:16
	s_movk_i32 s2, 0xf0
	s_movk_i32 s3, 0x1f0
	v_and_or_b32 v26, v26, s2, v76
	v_and_or_b32 v27, v27, s3, v76
	v_lshl_add_u32 v78, v26, 3, 0
	v_lshl_add_u32 v77, v27, 3, 0
	s_waitcnt lgkmcnt(0)
	; wave barrier
	s_waitcnt vmcnt(2) lgkmcnt(0)
	v_mul_f64 v[26:27], v[24:25], v[66:67]
	s_waitcnt vmcnt(1)
	v_mul_f64 v[90:91], v[38:39], v[82:83]
	s_waitcnt vmcnt(0)
	v_mul_f64 v[96:97], v[34:35], v[48:49]
	v_mul_f64 v[40:41], v[44:45], v[66:67]
	;; [unrolled: 1-line block ×13, first 2 shown]
	v_fmac_f64_e32 v[26:27], v[44:45], v[64:65]
	v_fmac_f64_e32 v[90:91], v[20:21], v[80:81]
	;; [unrolled: 1-line block ×3, first 2 shown]
	v_fma_f64 v[62:63], v[24:25], v[64:65], -v[40:41]
	v_fmac_f64_e32 v[84:85], v[14:15], v[64:65]
	v_fma_f64 v[60:61], v[32:33], v[64:65], -v[60:61]
	v_fmac_f64_e32 v[86:87], v[30:31], v[64:65]
	;; [unrolled: 2-line block ×5, first 2 shown]
	v_fmac_f64_e32 v[100:101], v[0:1], v[46:47]
	v_add_f64 v[30:31], v[42:43], -v[96:97]
	v_add_f64 v[64:65], v[26:27], -v[90:91]
	v_fma_f64 v[12:13], v[12:13], v[80:81], -v[68:69]
	v_add_f64 v[68:69], v[62:63], -v[14:15]
	v_add_f64 v[32:33], v[50:51], -v[98:99]
	;; [unrolled: 1-line block ×6, first 2 shown]
	v_fma_f64 v[40:41], v[42:43], 2.0, -v[30:31]
	v_fma_f64 v[10:11], v[26:27], 2.0, -v[64:65]
	v_add_f64 v[66:67], v[60:61], -v[12:13]
	v_add_f64 v[26:27], v[30:31], v[68:69]
	v_fma_f64 v[42:43], v[50:51], 2.0, -v[32:33]
	v_fma_f64 v[12:13], v[84:85], 2.0, -v[20:21]
	;; [unrolled: 1-line block ×4, first 2 shown]
	v_add_f64 v[14:15], v[38:39], v[52:53]
	v_add_f64 v[50:51], v[40:41], -v[10:11]
	v_add_f64 v[44:45], v[32:33], v[66:67]
	v_fma_f64 v[30:31], v[30:31], 2.0, -v[26:27]
	v_add_f64 v[80:81], v[42:43], -v[12:13]
	v_add_f64 v[12:13], v[24:25], -v[28:29]
	v_fma_f64 v[10:11], v[38:39], 2.0, -v[14:15]
	ds_write2_b64 v78, v[50:51], v[26:27] offset0:8 offset1:12
	v_fma_f64 v[26:27], v[40:41], 2.0, -v[50:51]
	v_lshlrev_b32_e32 v50, 2, v74
	v_fma_f64 v[32:33], v[32:33], 2.0, -v[44:45]
	v_fma_f64 v[28:29], v[42:43], 2.0, -v[80:81]
	ds_write2_b64 v78, v[26:27], v[30:31] offset1:4
	ds_write2_b64 v77, v[28:29], v[32:33] offset1:4
	ds_write2_b64 v77, v[80:81], v[44:45] offset0:8 offset1:12
	s_and_saveexec_b64 s[2:3], s[0:1]
	s_cbranch_execz .LBB0_25
; %bb.24:
	s_movk_i32 s4, 0x3f0
	v_and_or_b32 v26, v50, s4, v76
	v_fma_f64 v[24:25], v[24:25], 2.0, -v[12:13]
	v_lshl_add_u32 v26, v26, 3, 0
	ds_write2_b64 v26, v[24:25], v[10:11] offset1:4
	ds_write2_b64 v26, v[12:13], v[14:15] offset0:8 offset1:12
.LBB0_25:
	s_or_b64 exec, exec, s[2:3]
	v_add_u32_e32 v28, 0x800, v72
	v_add_u32_e32 v32, 0x400, v72
	s_waitcnt lgkmcnt(0)
	; wave barrier
	s_waitcnt lgkmcnt(0)
	ds_read2_b64 v[24:27], v72 offset1:176
	ds_read2_b64 v[28:31], v28 offset0:96 offset1:144
	ds_read2_b64 v[38:41], v32 offset0:96 offset1:144
	v_lshl_add_u32 v75, v70, 3, 0
	ds_read_b64 v[44:45], v72 offset:3584
	ds_read_b64 v[42:43], v73
	ds_read_b64 v[32:33], v75 offset:768
	v_cmp_gt_u32_e64 s[2:3], 32, v70
	s_and_saveexec_b64 s[4:5], s[2:3]
	s_cbranch_execz .LBB0_27
; %bb.26:
	v_add_u32_e32 v10, 0x400, v75
	ds_read2_b64 v[10:13], v10 offset0:16 offset1:192
	ds_read_b64 v[14:15], v72 offset:3968
.LBB0_27:
	s_or_b64 exec, exec, s[4:5]
	v_mul_f64 v[16:17], v[16:17], v[48:49]
	v_fma_f64 v[16:17], v[34:35], v[46:47], -v[16:17]
	v_mul_f64 v[0:1], v[0:1], v[48:49]
	v_mul_f64 v[18:19], v[18:19], v[48:49]
	v_fma_f64 v[0:1], v[8:9], v[46:47], -v[0:1]
	v_add_f64 v[8:9], v[22:23], -v[16:17]
	v_fma_f64 v[18:19], v[36:37], v[46:47], -v[18:19]
	v_add_f64 v[34:35], v[8:9], -v[64:65]
	v_fma_f64 v[16:17], v[22:23], 2.0, -v[8:9]
	v_fma_f64 v[36:37], v[8:9], 2.0, -v[34:35]
	v_add_f64 v[8:9], v[54:55], -v[18:19]
	v_fma_f64 v[22:23], v[62:63], 2.0, -v[68:69]
	v_fma_f64 v[18:19], v[54:55], 2.0, -v[8:9]
	v_add_f64 v[20:21], v[8:9], -v[20:21]
	v_add_f64 v[54:55], v[4:5], -v[0:1]
	;; [unrolled: 1-line block ×3, first 2 shown]
	v_fma_f64 v[46:47], v[60:61], 2.0, -v[66:67]
	v_fma_f64 v[48:49], v[8:9], 2.0, -v[20:21]
	;; [unrolled: 1-line block ×4, first 2 shown]
	v_add_f64 v[8:9], v[54:55], -v[2:3]
	v_fma_f64 v[16:17], v[16:17], 2.0, -v[22:23]
	v_add_f64 v[46:47], v[18:19], -v[46:47]
	v_add_f64 v[6:7], v[0:1], -v[4:5]
	v_fma_f64 v[4:5], v[54:55], 2.0, -v[8:9]
	v_fma_f64 v[18:19], v[18:19], 2.0, -v[46:47]
	s_waitcnt lgkmcnt(0)
	; wave barrier
	s_waitcnt lgkmcnt(0)
	ds_write2_b64 v78, v[16:17], v[36:37] offset1:4
	ds_write2_b64 v78, v[22:23], v[34:35] offset0:8 offset1:12
	ds_write2_b64 v77, v[18:19], v[48:49] offset1:4
	ds_write2_b64 v77, v[46:47], v[20:21] offset0:8 offset1:12
	s_and_saveexec_b64 s[4:5], s[0:1]
	s_cbranch_execz .LBB0_29
; %bb.28:
	s_movk_i32 s0, 0x3f0
	v_and_or_b32 v2, v50, s0, v76
	v_fma_f64 v[0:1], v[0:1], 2.0, -v[6:7]
	v_lshl_add_u32 v2, v2, 3, 0
	ds_write2_b64 v2, v[0:1], v[4:5] offset1:4
	ds_write2_b64 v2, v[6:7], v[8:9] offset0:8 offset1:12
.LBB0_29:
	s_or_b64 exec, exec, s[4:5]
	v_add_u32_e32 v0, 0x800, v72
	v_add_u32_e32 v20, 0x400, v72
	s_waitcnt lgkmcnt(0)
	; wave barrier
	s_waitcnt lgkmcnt(0)
	ds_read2_b64 v[16:19], v72 offset1:176
	ds_read2_b64 v[0:3], v0 offset0:96 offset1:144
	ds_read2_b64 v[20:23], v20 offset0:96 offset1:144
	ds_read_b64 v[46:47], v72 offset:3584
	ds_read_b64 v[36:37], v73
	ds_read_b64 v[34:35], v75 offset:768
	s_and_saveexec_b64 s[0:1], s[2:3]
	s_cbranch_execz .LBB0_31
; %bb.30:
	v_add_u32_e32 v4, 0x400, v75
	ds_read2_b64 v[4:7], v4 offset0:16 offset1:192
	ds_read_b64 v[8:9], v72 offset:3968
.LBB0_31:
	s_or_b64 exec, exec, s[0:1]
	v_and_b32_e32 v76, 15, v70
	v_lshlrev_b32_e32 v48, 5, v76
	global_load_dwordx4 v[78:81], v48, s[8:9] offset:192
	global_load_dwordx4 v[82:85], v48, s[8:9] offset:208
	v_lshrrev_b32_e32 v48, 4, v70
	v_lshrrev_b32_e32 v49, 4, v71
	;; [unrolled: 1-line block ×3, first 2 shown]
	v_mul_u32_u24_e32 v48, 48, v48
	v_mul_lo_u32 v49, v49, 48
	v_mul_u32_u24_e32 v50, 48, v50
	v_or_b32_e32 v48, v48, v76
	v_or_b32_e32 v49, v49, v76
	;; [unrolled: 1-line block ×3, first 2 shown]
	v_lshl_add_u32 v77, v48, 3, 0
	v_lshl_add_u32 v74, v49, 3, 0
	s_mov_b32 s0, 0xe8584caa
	v_lshl_add_u32 v71, v50, 3, 0
	s_mov_b32 s1, 0xbfebb67a
	v_add_u32_e32 v96, 0x90, v70
	s_mov_b32 s5, 0x3febb67a
	s_mov_b32 s4, s0
	s_waitcnt lgkmcnt(0)
	; wave barrier
	s_waitcnt vmcnt(1) lgkmcnt(0)
	v_mul_f64 v[64:65], v[18:19], v[80:81]
	s_waitcnt vmcnt(0)
	v_mul_f64 v[66:67], v[0:1], v[84:85]
	v_mul_f64 v[68:69], v[26:27], v[80:81]
	;; [unrolled: 1-line block ×8, first 2 shown]
	v_fmac_f64_e32 v[64:65], v[26:27], v[78:79]
	v_fmac_f64_e32 v[66:67], v[28:29], v[82:83]
	v_mul_f64 v[88:89], v[38:39], v[80:81]
	v_mul_f64 v[90:91], v[30:31], v[84:85]
	v_mul_f64 v[92:93], v[40:41], v[80:81]
	v_mul_f64 v[94:95], v[44:45], v[84:85]
	v_mul_f64 v[80:81], v[12:13], v[80:81]
	v_mul_f64 v[50:51], v[8:9], v[84:85]
	v_mul_f64 v[84:85], v[14:15], v[84:85]
	v_fma_f64 v[26:27], v[18:19], v[78:79], -v[68:69]
	v_fma_f64 v[68:69], v[0:1], v[82:83], -v[86:87]
	v_fmac_f64_e32 v[60:61], v[38:39], v[78:79]
	v_fmac_f64_e32 v[62:63], v[30:31], v[82:83]
	;; [unrolled: 1-line block ×5, first 2 shown]
	v_add_f64 v[12:13], v[64:65], v[66:67]
	v_fma_f64 v[18:19], v[20:21], v[78:79], -v[88:89]
	v_fma_f64 v[20:21], v[2:3], v[82:83], -v[90:91]
	;; [unrolled: 1-line block ×4, first 2 shown]
	v_fmac_f64_e32 v[50:51], v[14:15], v[82:83]
	v_fma_f64 v[28:29], v[8:9], v[82:83], -v[84:85]
	v_add_f64 v[8:9], v[24:25], v[64:65]
	v_add_f64 v[14:15], v[26:27], -v[68:69]
	v_add_f64 v[30:31], v[60:61], v[62:63]
	v_add_f64 v[44:45], v[52:53], v[54:55]
	v_fmac_f64_e32 v[24:25], -0.5, v[12:13]
	v_add_f64 v[22:23], v[42:43], v[60:61]
	v_add_f64 v[38:39], v[18:19], -v[20:21]
	v_add_f64 v[40:41], v[32:33], v[52:53]
	v_add_f64 v[46:47], v[0:1], -v[2:3]
	v_add_f64 v[8:9], v[8:9], v[66:67]
	v_fmac_f64_e32 v[42:43], -0.5, v[30:31]
	v_fmac_f64_e32 v[32:33], -0.5, v[44:45]
	v_fma_f64 v[30:31], s[0:1], v[14:15], v[24:25]
	v_fma_f64 v[6:7], v[6:7], v[78:79], -v[80:81]
	v_add_f64 v[12:13], v[22:23], v[62:63]
	v_add_f64 v[22:23], v[40:41], v[54:55]
	v_fmac_f64_e32 v[24:25], s[4:5], v[14:15]
	v_fma_f64 v[14:15], s[0:1], v[38:39], v[42:43]
	v_fmac_f64_e32 v[42:43], s[4:5], v[38:39]
	v_fma_f64 v[38:39], s[0:1], v[46:47], v[32:33]
	v_fmac_f64_e32 v[32:33], s[4:5], v[46:47]
	ds_write2_b64 v77, v[8:9], v[30:31] offset1:16
	ds_write_b64 v77, v[24:25] offset:256
	ds_write2_b64 v74, v[12:13], v[14:15] offset1:16
	ds_write_b64 v74, v[42:43] offset:256
	ds_write2_b64 v71, v[22:23], v[38:39] offset1:16
	ds_write_b64 v71, v[32:33] offset:256
	v_lshrrev_b32_e32 v30, 4, v96
	s_and_saveexec_b64 s[12:13], s[2:3]
	s_cbranch_execz .LBB0_33
; %bb.32:
	v_mul_u32_u24_e32 v8, 48, v30
	v_or_b32_e32 v8, v8, v76
	v_add_f64 v[12:13], v[48:49], v[50:51]
	v_lshl_add_u32 v22, v8, 3, 0
	v_add_f64 v[8:9], v[6:7], -v[28:29]
	v_fma_f64 v[12:13], -0.5, v[12:13], v[10:11]
	v_fma_f64 v[14:15], s[4:5], v[8:9], v[12:13]
	v_fmac_f64_e32 v[12:13], s[0:1], v[8:9]
	v_add_f64 v[8:9], v[10:11], v[48:49]
	v_add_f64 v[8:9], v[8:9], v[50:51]
	ds_write2_b64 v22, v[8:9], v[12:13] offset1:16
	ds_write_b64 v22, v[14:15] offset:256
.LBB0_33:
	s_or_b64 exec, exec, s[12:13]
	v_add_f64 v[8:9], v[16:17], v[26:27]
	v_add_f64 v[32:33], v[8:9], v[68:69]
	;; [unrolled: 1-line block ×3, first 2 shown]
	v_fmac_f64_e32 v[16:17], -0.5, v[8:9]
	v_add_f64 v[8:9], v[64:65], -v[66:67]
	v_fma_f64 v[38:39], s[4:5], v[8:9], v[16:17]
	v_fmac_f64_e32 v[16:17], s[0:1], v[8:9]
	v_add_f64 v[8:9], v[36:37], v[18:19]
	v_add_f64 v[40:41], v[8:9], v[20:21]
	;; [unrolled: 1-line block ×3, first 2 shown]
	v_fmac_f64_e32 v[36:37], -0.5, v[8:9]
	v_add_f64 v[8:9], v[60:61], -v[62:63]
	v_fma_f64 v[42:43], s[4:5], v[8:9], v[36:37]
	v_fmac_f64_e32 v[36:37], s[0:1], v[8:9]
	v_add_f64 v[8:9], v[34:35], v[0:1]
	v_add_f64 v[0:1], v[0:1], v[2:3]
	;; [unrolled: 1-line block ×3, first 2 shown]
	v_fmac_f64_e32 v[34:35], -0.5, v[0:1]
	v_add_f64 v[0:1], v[52:53], -v[54:55]
	v_add_u32_e32 v8, 0x400, v72
	v_fma_f64 v[46:47], s[4:5], v[0:1], v[34:35]
	v_fmac_f64_e32 v[34:35], s[0:1], v[0:1]
	s_waitcnt lgkmcnt(0)
	; wave barrier
	s_waitcnt lgkmcnt(0)
	ds_read2st64_b64 v[0:3], v72 offset1:3
	ds_read_b64 v[26:27], v73
	ds_read2_b64 v[12:15], v75 offset0:96 offset1:144
	ds_read2_b64 v[22:25], v8 offset0:112 offset1:160
	v_add_u32_e32 v8, 0x800, v72
	ds_read2_b64 v[18:21], v8 offset0:80 offset1:128
	ds_read2_b64 v[8:11], v8 offset0:176 offset1:224
	s_waitcnt lgkmcnt(0)
	; wave barrier
	s_waitcnt lgkmcnt(0)
	ds_write2_b64 v77, v[32:33], v[38:39] offset1:16
	ds_write_b64 v77, v[16:17] offset:256
	ds_write2_b64 v74, v[40:41], v[42:43] offset1:16
	ds_write_b64 v74, v[36:37] offset:256
	;; [unrolled: 2-line block ×3, first 2 shown]
	s_and_saveexec_b64 s[0:1], s[2:3]
	s_cbranch_execz .LBB0_35
; %bb.34:
	v_add_f64 v[16:17], v[4:5], v[6:7]
	v_add_f64 v[6:7], v[6:7], v[28:29]
	v_fmac_f64_e32 v[4:5], -0.5, v[6:7]
	v_add_f64 v[6:7], v[48:49], -v[50:51]
	s_mov_b32 s3, 0x3febb67a
	s_mov_b32 s2, 0xe8584caa
	v_add_f64 v[16:17], v[16:17], v[28:29]
	v_fma_f64 v[28:29], s[2:3], v[6:7], v[4:5]
	s_mov_b32 s3, 0xbfebb67a
	v_fmac_f64_e32 v[4:5], s[2:3], v[6:7]
	v_mul_u32_u24_e32 v6, 48, v30
	v_or_b32_e32 v6, v6, v76
	v_lshl_add_u32 v6, v6, 3, 0
	ds_write2_b64 v6, v[16:17], v[28:29] offset1:16
	ds_write_b64 v6, v[4:5] offset:256
.LBB0_35:
	s_or_b64 exec, exec, s[0:1]
	s_waitcnt lgkmcnt(0)
	; wave barrier
	s_waitcnt lgkmcnt(0)
	s_and_saveexec_b64 s[0:1], vcc
	s_cbranch_execz .LBB0_37
; %bb.36:
	v_mul_u32_u24_e32 v4, 10, v70
	v_lshlrev_b32_e32 v4, 4, v4
	global_load_dwordx4 v[48:51], v4, s[8:9] offset:768
	global_load_dwordx4 v[52:55], v4, s[8:9] offset:784
	;; [unrolled: 1-line block ×10, first 2 shown]
	v_add_u32_e32 v28, 0x400, v72
	ds_read2st64_b64 v[4:7], v72 offset1:3
	v_add_u32_e32 v29, 0x800, v72
	ds_read2_b64 v[92:95], v75 offset0:96 offset1:144
	ds_read_b64 v[16:17], v73
	ds_read2_b64 v[72:75], v28 offset0:112 offset1:160
	ds_read2_b64 v[96:99], v29 offset0:80 offset1:128
	;; [unrolled: 1-line block ×3, first 2 shown]
	s_mov_b32 s22, 0xfd768dbf
	s_mov_b32 s24, 0xf8bb580b
	;; [unrolled: 1-line block ×26, first 2 shown]
	v_mul_lo_u32 v113, s11, v58
	s_waitcnt vmcnt(9)
	v_mul_f64 v[30:31], v[22:23], v[48:49]
	s_waitcnt vmcnt(8)
	v_mul_f64 v[32:33], v[24:25], v[52:53]
	v_mul_f64 v[24:25], v[24:25], v[54:55]
	s_waitcnt vmcnt(6)
	v_mul_f64 v[34:35], v[18:19], v[64:65]
	;; [unrolled: 3-line block ×4, first 2 shown]
	s_waitcnt vmcnt(1)
	v_mul_f64 v[46:47], v[26:27], v[88:89]
	s_waitcnt vmcnt(0)
	v_mul_f64 v[42:43], v[10:11], v[102:103]
	v_mul_f64 v[38:39], v[8:9], v[84:85]
	s_waitcnt lgkmcnt(3)
	v_fmac_f64_e32 v[46:47], v[16:17], v[90:91]
	s_waitcnt lgkmcnt(0)
	v_fmac_f64_e32 v[42:43], v[108:109], v[104:105]
	v_mul_f64 v[26:27], v[26:27], v[90:91]
	v_mul_f64 v[10:11], v[10:11], v[104:105]
	v_mul_f64 v[22:23], v[22:23], v[50:51]
	v_mul_f64 v[36:37], v[2:3], v[60:61]
	v_mul_f64 v[28:29], v[2:3], v[62:63]
	v_mul_f64 v[2:3], v[20:21], v[76:77]
	v_mul_f64 v[20:21], v[20:21], v[78:79]
	v_mul_f64 v[12:13], v[12:13], v[82:83]
	v_mul_f64 v[8:9], v[8:9], v[86:87]
	v_fmac_f64_e32 v[30:31], v[72:73], v[50:51]
	v_fma_f64 v[50:51], v[74:75], v[52:53], -v[24:25]
	v_fma_f64 v[52:53], v[96:97], v[64:65], -v[18:19]
	v_fmac_f64_e32 v[40:41], v[94:95], v[70:71]
	v_fma_f64 v[64:65], v[94:95], v[68:69], -v[14:15]
	v_fmac_f64_e32 v[44:45], v[92:93], v[82:83]
	v_fmac_f64_e32 v[38:39], v[106:107], v[86:87]
	v_add_f64 v[100:101], v[46:47], -v[42:43]
	v_fma_f64 v[70:71], v[16:17], v[88:89], -v[26:27]
	v_fma_f64 v[68:69], v[108:109], v[102:103], -v[10:11]
	v_fmac_f64_e32 v[32:33], v[74:75], v[54:55]
	v_fmac_f64_e32 v[36:37], v[6:7], v[62:63]
	;; [unrolled: 1-line block ×3, first 2 shown]
	v_fma_f64 v[54:55], v[6:7], v[60:61], -v[28:29]
	v_fmac_f64_e32 v[2:3], v[98:99], v[78:79]
	v_fma_f64 v[60:61], v[98:99], v[76:77], -v[20:21]
	v_fma_f64 v[66:67], v[92:93], v[80:81], -v[12:13]
	;; [unrolled: 1-line block ×3, first 2 shown]
	v_add_f64 v[98:99], v[44:45], -v[38:39]
	v_mul_f64 v[28:29], v[100:101], s[22:23]
	v_add_f64 v[82:83], v[70:71], v[68:69]
	v_add_f64 v[96:97], v[40:41], -v[2:3]
	v_add_f64 v[78:79], v[66:67], v[62:63]
	v_mul_f64 v[20:21], v[98:99], s[24:25]
	v_fma_f64 v[10:11], s[20:21], v[82:83], v[28:29]
	v_add_f64 v[94:95], v[36:37], -v[34:35]
	v_add_f64 v[76:77], v[64:65], v[60:61]
	v_mul_f64 v[18:19], v[96:97], s[14:15]
	v_fma_f64 v[24:25], s[8:9], v[78:79], v[20:21]
	v_add_f64 v[10:11], v[4:5], v[10:11]
	v_fma_f64 v[28:29], v[82:83], s[20:21], -v[28:29]
	v_fma_f64 v[48:49], v[72:73], v[48:49], -v[22:23]
	v_add_f64 v[80:81], v[30:31], -v[32:33]
	v_add_f64 v[74:75], v[54:55], v[52:53]
	v_mul_f64 v[14:15], v[94:95], s[18:19]
	v_fma_f64 v[22:23], s[4:5], v[76:77], v[18:19]
	v_add_f64 v[10:11], v[24:25], v[10:11]
	v_add_f64 v[110:111], v[70:71], -v[68:69]
	v_fma_f64 v[20:21], v[78:79], s[8:9], -v[20:21]
	v_add_f64 v[28:29], v[4:5], v[28:29]
	v_add_f64 v[72:73], v[48:49], v[50:51]
	v_mul_f64 v[12:13], v[80:81], s[12:13]
	v_fma_f64 v[8:9], s[2:3], v[74:75], v[14:15]
	v_add_f64 v[10:11], v[22:23], v[10:11]
	v_add_f64 v[108:109], v[66:67], -v[62:63]
	v_add_f64 v[92:93], v[46:47], v[42:43]
	v_mul_f64 v[24:25], v[110:111], s[22:23]
	v_fma_f64 v[18:19], v[76:77], s[4:5], -v[18:19]
	v_add_f64 v[20:21], v[20:21], v[28:29]
	v_fma_f64 v[6:7], s[0:1], v[72:73], v[12:13]
	v_add_f64 v[8:9], v[8:9], v[10:11]
	v_add_f64 v[104:105], v[64:65], -v[60:61]
	v_add_f64 v[90:91], v[44:45], v[38:39]
	v_mul_f64 v[22:23], v[108:109], s[24:25]
	v_fma_f64 v[26:27], v[92:93], s[20:21], -v[24:25]
	v_fma_f64 v[14:15], v[74:75], s[2:3], -v[14:15]
	v_add_f64 v[18:19], v[18:19], v[20:21]
	v_add_f64 v[8:9], v[6:7], v[8:9]
	v_add_f64 v[102:103], v[54:55], -v[52:53]
	v_add_f64 v[88:89], v[40:41], v[2:3]
	v_mul_f64 v[16:17], v[104:105], s[14:15]
	v_fma_f64 v[6:7], v[90:91], s[8:9], -v[22:23]
	v_add_f64 v[26:27], v[0:1], v[26:27]
	v_fma_f64 v[12:13], v[72:73], s[0:1], -v[12:13]
	v_add_f64 v[14:15], v[14:15], v[18:19]
	v_fmac_f64_e32 v[24:25], s[20:21], v[92:93]
	v_add_f64 v[86:87], v[36:37], v[34:35]
	v_mul_f64 v[10:11], v[102:103], s[18:19]
	v_add_f64 v[6:7], v[6:7], v[26:27]
	v_fma_f64 v[26:27], v[88:89], s[4:5], -v[16:17]
	v_add_f64 v[12:13], v[12:13], v[14:15]
	v_fmac_f64_e32 v[22:23], s[8:9], v[90:91]
	v_add_f64 v[14:15], v[0:1], v[24:25]
	v_add_f64 v[6:7], v[26:27], v[6:7]
	v_fma_f64 v[26:27], v[86:87], s[2:3], -v[10:11]
	v_add_f64 v[106:107], v[48:49], -v[50:51]
	v_fmac_f64_e32 v[16:17], s[4:5], v[88:89]
	v_add_f64 v[14:15], v[22:23], v[14:15]
	v_add_f64 v[84:85], v[30:31], v[32:33]
	;; [unrolled: 1-line block ×3, first 2 shown]
	v_mul_f64 v[26:27], v[106:107], s[12:13]
	v_fmac_f64_e32 v[10:11], s[2:3], v[86:87]
	v_add_f64 v[14:15], v[16:17], v[14:15]
	v_fma_f64 v[114:115], v[84:85], s[0:1], -v[26:27]
	v_fmac_f64_e32 v[26:27], s[0:1], v[84:85]
	v_add_f64 v[10:11], v[10:11], v[14:15]
	v_add_f64 v[10:11], v[26:27], v[10:11]
	v_mul_f64 v[26:27], v[100:101], s[14:15]
	v_mul_f64 v[22:23], v[98:99], s[28:29]
	v_fma_f64 v[28:29], s[4:5], v[82:83], v[26:27]
	v_mul_f64 v[20:21], v[96:97], s[26:27]
	v_fma_f64 v[24:25], s[0:1], v[78:79], v[22:23]
	v_add_f64 v[28:29], v[4:5], v[28:29]
	v_mul_f64 v[18:19], v[94:95], s[22:23]
	v_fma_f64 v[16:17], s[8:9], v[76:77], v[20:21]
	v_add_f64 v[24:25], v[24:25], v[28:29]
	v_fma_f64 v[14:15], s[20:21], v[74:75], v[18:19]
	v_add_f64 v[16:17], v[16:17], v[24:25]
	v_mul_f64 v[28:29], v[110:111], s[14:15]
	v_add_f64 v[14:15], v[14:15], v[16:17]
	v_mul_f64 v[24:25], v[108:109], s[28:29]
	v_fma_f64 v[16:17], v[92:93], s[4:5], -v[28:29]
	v_fma_f64 v[26:27], v[82:83], s[4:5], -v[26:27]
	v_add_f64 v[6:7], v[114:115], v[6:7]
	v_add_f64 v[16:17], v[0:1], v[16:17]
	v_fma_f64 v[114:115], v[90:91], s[0:1], -v[24:25]
	v_fma_f64 v[22:23], v[78:79], s[0:1], -v[22:23]
	v_add_f64 v[26:27], v[4:5], v[26:27]
	v_add_f64 v[16:17], v[114:115], v[16:17]
	v_mul_f64 v[114:115], v[104:105], s[26:27]
	v_add_f64 v[22:23], v[22:23], v[26:27]
	v_fma_f64 v[20:21], v[76:77], s[8:9], -v[20:21]
	v_fma_f64 v[116:117], v[88:89], s[8:9], -v[114:115]
	v_add_f64 v[20:21], v[20:21], v[22:23]
	v_fma_f64 v[18:19], v[74:75], s[20:21], -v[18:19]
	v_fmac_f64_e32 v[28:29], s[4:5], v[92:93]
	v_add_f64 v[16:17], v[116:117], v[16:17]
	v_mul_f64 v[116:117], v[102:103], s[22:23]
	v_mul_f64 v[120:121], v[80:81], s[18:19]
	v_add_f64 v[18:19], v[18:19], v[20:21]
	v_fmac_f64_e32 v[24:25], s[0:1], v[90:91]
	v_add_f64 v[20:21], v[0:1], v[28:29]
	v_mul_f64 v[28:29], v[100:101], s[12:13]
	v_fma_f64 v[118:119], v[86:87], s[20:21], -v[116:117]
	v_add_f64 v[22:23], v[24:25], v[20:21]
	v_fma_f64 v[20:21], v[72:73], s[2:3], -v[120:121]
	v_fmac_f64_e32 v[114:115], s[8:9], v[88:89]
	v_mul_f64 v[26:27], v[98:99], s[30:31]
	v_fma_f64 v[24:25], s[0:1], v[82:83], v[28:29]
	v_add_f64 v[118:119], v[118:119], v[16:17]
	v_fma_f64 v[16:17], s[2:3], v[72:73], v[120:121]
	v_mul_f64 v[122:123], v[106:107], s[18:19]
	v_add_f64 v[20:21], v[20:21], v[18:19]
	v_fmac_f64_e32 v[116:117], s[20:21], v[86:87]
	v_add_f64 v[18:19], v[114:115], v[22:23]
	v_fma_f64 v[22:23], s[20:21], v[78:79], v[26:27]
	v_add_f64 v[24:25], v[4:5], v[24:25]
	v_mul_f64 v[114:115], v[96:97], s[18:19]
	v_add_f64 v[16:17], v[16:17], v[14:15]
	v_fma_f64 v[14:15], v[84:85], s[2:3], -v[122:123]
	v_add_f64 v[18:19], v[116:117], v[18:19]
	v_add_f64 v[22:23], v[22:23], v[24:25]
	v_fma_f64 v[24:25], s[2:3], v[76:77], v[114:115]
	v_mul_f64 v[116:117], v[94:95], s[26:27]
	v_add_f64 v[14:15], v[14:15], v[118:119]
	v_add_f64 v[22:23], v[24:25], v[22:23]
	v_fma_f64 v[24:25], s[8:9], v[74:75], v[116:117]
	v_mul_f64 v[118:119], v[110:111], s[12:13]
	v_fmac_f64_e32 v[122:123], s[2:3], v[84:85]
	v_add_f64 v[22:23], v[24:25], v[22:23]
	v_fma_f64 v[24:25], v[92:93], s[0:1], -v[118:119]
	v_mul_f64 v[120:121], v[108:109], s[30:31]
	v_fma_f64 v[28:29], v[82:83], s[0:1], -v[28:29]
	v_add_f64 v[18:19], v[122:123], v[18:19]
	v_add_f64 v[24:25], v[0:1], v[24:25]
	v_fma_f64 v[122:123], v[90:91], s[20:21], -v[120:121]
	v_fma_f64 v[26:27], v[78:79], s[20:21], -v[26:27]
	v_add_f64 v[28:29], v[4:5], v[28:29]
	v_add_f64 v[24:25], v[122:123], v[24:25]
	v_mul_f64 v[122:123], v[104:105], s[18:19]
	v_add_f64 v[26:27], v[26:27], v[28:29]
	v_fma_f64 v[28:29], v[76:77], s[2:3], -v[114:115]
	v_fma_f64 v[124:125], v[88:89], s[2:3], -v[122:123]
	v_add_f64 v[26:27], v[28:29], v[26:27]
	v_fma_f64 v[28:29], v[74:75], s[8:9], -v[116:117]
	v_fmac_f64_e32 v[118:119], s[0:1], v[92:93]
	v_add_f64 v[24:25], v[124:125], v[24:25]
	v_mul_f64 v[124:125], v[102:103], s[26:27]
	v_add_f64 v[26:27], v[28:29], v[26:27]
	v_fmac_f64_e32 v[120:121], s[20:21], v[90:91]
	v_add_f64 v[28:29], v[0:1], v[118:119]
	v_fma_f64 v[126:127], v[86:87], s[8:9], -v[124:125]
	v_mul_f64 v[128:129], v[80:81], s[14:15]
	v_add_f64 v[28:29], v[120:121], v[28:29]
	v_fmac_f64_e32 v[122:123], s[2:3], v[88:89]
	s_mov_b32 s19, 0xbfed1bb4
	v_add_f64 v[126:127], v[126:127], v[24:25]
	v_fma_f64 v[24:25], s[4:5], v[72:73], v[128:129]
	v_mul_f64 v[130:131], v[106:107], s[14:15]
	v_add_f64 v[28:29], v[122:123], v[28:29]
	v_fmac_f64_e32 v[124:125], s[8:9], v[86:87]
	v_fma_f64 v[114:115], v[72:73], s[4:5], -v[128:129]
	v_mul_f64 v[118:119], v[100:101], s[18:19]
	v_add_f64 v[24:25], v[24:25], v[22:23]
	v_fma_f64 v[22:23], v[84:85], s[4:5], -v[130:131]
	v_add_f64 v[28:29], v[124:125], v[28:29]
	v_add_f64 v[116:117], v[114:115], v[26:27]
	v_fmac_f64_e32 v[130:131], s[4:5], v[84:85]
	v_fma_f64 v[26:27], s[2:3], v[82:83], v[118:119]
	v_mul_f64 v[120:121], v[98:99], s[14:15]
	v_add_f64 v[114:115], v[130:131], v[28:29]
	v_add_f64 v[26:27], v[4:5], v[26:27]
	v_fma_f64 v[28:29], s[4:5], v[78:79], v[120:121]
	v_mul_f64 v[122:123], v[96:97], s[30:31]
	v_add_f64 v[26:27], v[28:29], v[26:27]
	v_fma_f64 v[28:29], s[20:21], v[76:77], v[122:123]
	v_mul_f64 v[124:125], v[94:95], s[28:29]
	v_add_f64 v[22:23], v[22:23], v[126:127]
	v_add_f64 v[26:27], v[28:29], v[26:27]
	v_fma_f64 v[28:29], s[0:1], v[74:75], v[124:125]
	v_mul_f64 v[126:127], v[110:111], s[18:19]
	v_add_f64 v[26:27], v[28:29], v[26:27]
	v_fma_f64 v[28:29], v[92:93], s[2:3], -v[126:127]
	v_mul_f64 v[128:129], v[108:109], s[14:15]
	v_fma_f64 v[118:119], v[82:83], s[2:3], -v[118:119]
	v_add_f64 v[28:29], v[0:1], v[28:29]
	v_fma_f64 v[130:131], v[90:91], s[4:5], -v[128:129]
	v_fma_f64 v[120:121], v[78:79], s[4:5], -v[120:121]
	v_add_f64 v[118:119], v[4:5], v[118:119]
	v_add_f64 v[28:29], v[130:131], v[28:29]
	v_mul_f64 v[130:131], v[104:105], s[30:31]
	v_add_f64 v[118:119], v[120:121], v[118:119]
	v_fma_f64 v[120:121], v[76:77], s[20:21], -v[122:123]
	v_fma_f64 v[132:133], v[88:89], s[20:21], -v[130:131]
	v_add_f64 v[118:119], v[120:121], v[118:119]
	v_fma_f64 v[120:121], v[74:75], s[0:1], -v[124:125]
	v_fmac_f64_e32 v[126:127], s[2:3], v[92:93]
	v_add_f64 v[28:29], v[132:133], v[28:29]
	v_mul_f64 v[132:133], v[102:103], s[28:29]
	v_add_f64 v[118:119], v[120:121], v[118:119]
	v_fmac_f64_e32 v[128:129], s[4:5], v[90:91]
	v_add_f64 v[120:121], v[0:1], v[126:127]
	v_fma_f64 v[134:135], v[86:87], s[0:1], -v[132:133]
	v_mul_f64 v[136:137], v[80:81], s[24:25]
	v_add_f64 v[120:121], v[128:129], v[120:121]
	v_fmac_f64_e32 v[130:131], s[20:21], v[88:89]
	v_add_f64 v[134:135], v[134:135], v[28:29]
	v_fma_f64 v[28:29], s[8:9], v[72:73], v[136:137]
	v_mul_f64 v[138:139], v[106:107], s[24:25]
	v_add_f64 v[120:121], v[130:131], v[120:121]
	v_fmac_f64_e32 v[132:133], s[0:1], v[86:87]
	v_add_f64 v[28:29], v[28:29], v[26:27]
	v_fma_f64 v[26:27], v[84:85], s[8:9], -v[138:139]
	v_add_f64 v[122:123], v[132:133], v[120:121]
	v_fma_f64 v[120:121], v[72:73], s[8:9], -v[136:137]
	v_fmac_f64_e32 v[138:139], s[8:9], v[84:85]
	v_mul_f64 v[100:101], v[100:101], s[26:27]
	v_add_f64 v[120:121], v[120:121], v[118:119]
	v_add_f64 v[118:119], v[138:139], v[122:123]
	v_mul_f64 v[98:99], v[98:99], s[18:19]
	v_fma_f64 v[122:123], s[8:9], v[82:83], v[100:101]
	v_add_f64 v[122:123], v[4:5], v[122:123]
	v_fma_f64 v[124:125], s[2:3], v[78:79], v[98:99]
	v_add_f64 v[122:123], v[124:125], v[122:123]
	v_mul_f64 v[124:125], v[96:97], s[12:13]
	v_fma_f64 v[96:97], s[0:1], v[76:77], v[124:125]
	v_add_f64 v[96:97], v[96:97], v[122:123]
	v_mul_f64 v[122:123], v[94:95], s[14:15]
	v_fma_f64 v[94:95], s[4:5], v[74:75], v[122:123]
	v_mul_f64 v[110:111], v[110:111], s[26:27]
	v_add_f64 v[94:95], v[94:95], v[96:97]
	v_mul_f64 v[108:109], v[108:109], s[18:19]
	v_fma_f64 v[96:97], v[92:93], s[8:9], -v[110:111]
	v_add_f64 v[96:97], v[0:1], v[96:97]
	v_fma_f64 v[126:127], v[90:91], s[2:3], -v[108:109]
	v_mul_f64 v[104:105], v[104:105], s[12:13]
	v_add_f64 v[96:97], v[126:127], v[96:97]
	v_fma_f64 v[126:127], v[88:89], s[0:1], -v[104:105]
	v_mul_f64 v[102:103], v[102:103], s[14:15]
	;; [unrolled: 3-line block ×3, first 2 shown]
	v_add_f64 v[126:127], v[126:127], v[96:97]
	v_fma_f64 v[96:97], s[20:21], v[72:73], v[80:81]
	v_fma_f64 v[72:73], v[72:73], s[20:21], -v[80:81]
	v_fma_f64 v[80:81], v[82:83], s[8:9], -v[100:101]
	v_fma_f64 v[78:79], v[78:79], s[2:3], -v[98:99]
	v_add_f64 v[80:81], v[4:5], v[80:81]
	v_fma_f64 v[76:77], v[76:77], s[0:1], -v[124:125]
	v_add_f64 v[78:79], v[78:79], v[80:81]
	v_fma_f64 v[74:75], v[74:75], s[4:5], -v[122:123]
	v_add_f64 v[76:77], v[76:77], v[78:79]
	v_add_f64 v[74:75], v[74:75], v[76:77]
	v_fmac_f64_e32 v[110:111], s[8:9], v[92:93]
	v_add_f64 v[74:75], v[72:73], v[74:75]
	v_add_f64 v[72:73], v[0:1], v[110:111]
	;; [unrolled: 1-line block ×13, first 2 shown]
	v_mul_f64 v[106:107], v[106:107], s[22:23]
	v_add_f64 v[4:5], v[54:55], v[4:5]
	v_add_f64 v[0:1], v[38:39], v[0:1]
	;; [unrolled: 1-line block ×3, first 2 shown]
	v_fma_f64 v[94:95], v[84:85], s[20:21], -v[106:107]
	v_fmac_f64_e32 v[104:105], s[0:1], v[88:89]
	v_add_f64 v[4:5], v[48:49], v[4:5]
	v_add_f64 v[2:3], v[42:43], v[0:1]
	v_mad_u64_u32 v[0:1], s[0:1], s16, v112, 0
	v_add_f64 v[94:95], v[94:95], v[126:127]
	v_mul_lo_u32 v126, s10, v59
	v_mad_u64_u32 v[58:59], s[10:11], s10, v58, 0
	v_add_f64 v[4:5], v[50:51], v[4:5]
	v_mov_b32_e32 v30, v1
	v_add3_u32 v59, v59, v126, v113
	v_add_f64 v[4:5], v[52:53], v[4:5]
	v_mad_u64_u32 v[30:31], s[0:1], s17, v112, v[30:31]
	v_add_f64 v[4:5], v[60:61], v[4:5]
	v_mov_b32_e32 v1, v30
	v_lshl_add_u64 v[30:31], v[58:59], 4, s[6:7]
	v_add_f64 v[4:5], v[62:63], v[4:5]
	v_lshl_add_u64 v[30:31], v[56:57], 4, v[30:31]
	v_add_f64 v[4:5], v[68:69], v[4:5]
	v_lshl_add_u64 v[0:1], v[0:1], 4, v[30:31]
	global_store_dwordx4 v[0:1], v[2:5], off
	v_fmac_f64_e32 v[108:109], s[2:3], v[90:91]
	v_add_f64 v[72:73], v[108:109], v[72:73]
	v_add_u32_e32 v3, 48, v112
	v_mad_u64_u32 v[0:1], s[0:1], s16, v3, 0
	v_mov_b32_e32 v2, v1
	v_fmac_f64_e32 v[102:103], s[4:5], v[86:87]
	v_add_f64 v[72:73], v[104:105], v[72:73]
	v_mad_u64_u32 v[2:3], s[0:1], s17, v3, v[2:3]
	v_fmac_f64_e32 v[106:107], s[20:21], v[84:85]
	v_add_f64 v[72:73], v[102:103], v[72:73]
	v_mov_b32_e32 v1, v2
	v_add_f64 v[72:73], v[106:107], v[72:73]
	v_lshl_add_u64 v[0:1], v[0:1], 4, v[30:31]
	v_add_u32_e32 v3, 0x60, v112
	global_store_dwordx4 v[0:1], v[72:75], off
	v_mad_u64_u32 v[0:1], s[0:1], s16, v3, 0
	v_mov_b32_e32 v2, v1
	v_mad_u64_u32 v[2:3], s[0:1], s17, v3, v[2:3]
	v_mov_b32_e32 v1, v2
	v_lshl_add_u64 v[0:1], v[0:1], 4, v[30:31]
	v_add_u32_e32 v3, 0x90, v112
	global_store_dwordx4 v[0:1], v[118:121], off
	v_mad_u64_u32 v[0:1], s[0:1], s16, v3, 0
	v_mov_b32_e32 v2, v1
	v_mad_u64_u32 v[2:3], s[0:1], s17, v3, v[2:3]
	v_mov_b32_e32 v1, v2
	v_lshl_add_u64 v[0:1], v[0:1], 4, v[30:31]
	v_or_b32_e32 v3, 0xc0, v112
	global_store_dwordx4 v[0:1], v[114:117], off
	v_mad_u64_u32 v[0:1], s[0:1], s16, v3, 0
	v_mov_b32_e32 v2, v1
	v_mad_u64_u32 v[2:3], s[0:1], s17, v3, v[2:3]
	v_mov_b32_e32 v1, v2
	v_lshl_add_u64 v[0:1], v[0:1], 4, v[30:31]
	v_add_u32_e32 v3, 0xf0, v112
	global_store_dwordx4 v[0:1], v[18:21], off
	v_mad_u64_u32 v[0:1], s[0:1], s16, v3, 0
	v_mov_b32_e32 v2, v1
	v_mad_u64_u32 v[2:3], s[0:1], s17, v3, v[2:3]
	v_mov_b32_e32 v1, v2
	v_lshl_add_u64 v[0:1], v[0:1], 4, v[30:31]
	v_add_u32_e32 v3, 0x120, v112
	;; [unrolled: 7-line block ×3, first 2 shown]
	global_store_dwordx4 v[0:1], v[6:9], off
	v_mad_u64_u32 v[0:1], s[0:1], s16, v3, 0
	v_mov_b32_e32 v2, v1
	v_mad_u64_u32 v[2:3], s[0:1], s17, v3, v[2:3]
	v_mov_b32_e32 v1, v2
	v_lshl_add_u64 v[0:1], v[0:1], 4, v[30:31]
	v_or_b32_e32 v3, 0x180, v112
	global_store_dwordx4 v[0:1], v[14:17], off
	v_mad_u64_u32 v[0:1], s[0:1], s16, v3, 0
	v_mov_b32_e32 v2, v1
	v_mad_u64_u32 v[2:3], s[0:1], s17, v3, v[2:3]
	v_mov_b32_e32 v1, v2
	v_lshl_add_u64 v[0:1], v[0:1], 4, v[30:31]
	v_add_u32_e32 v3, 0x1b0, v112
	global_store_dwordx4 v[0:1], v[22:25], off
	v_mad_u64_u32 v[0:1], s[0:1], s16, v3, 0
	v_mov_b32_e32 v2, v1
	v_mad_u64_u32 v[2:3], s[0:1], s17, v3, v[2:3]
	v_mov_b32_e32 v1, v2
	v_add_f64 v[26:27], v[26:27], v[134:135]
	v_lshl_add_u64 v[0:1], v[0:1], 4, v[30:31]
	v_add_u32_e32 v3, 0x1e0, v112
	global_store_dwordx4 v[0:1], v[26:29], off
	v_mad_u64_u32 v[0:1], s[0:1], s16, v3, 0
	v_mov_b32_e32 v2, v1
	v_mad_u64_u32 v[2:3], s[0:1], s17, v3, v[2:3]
	v_mov_b32_e32 v1, v2
	v_lshl_add_u64 v[0:1], v[0:1], 4, v[30:31]
	global_store_dwordx4 v[0:1], v[94:97], off
.LBB0_37:
	s_endpgm
	.section	.rodata,"a",@progbits
	.p2align	6, 0x0
	.amdhsa_kernel fft_rtc_back_len528_factors_4_4_3_11_wgs_48_tpt_48_halfLds_dp_op_CI_CI_sbrr_dirReg
		.amdhsa_group_segment_fixed_size 0
		.amdhsa_private_segment_fixed_size 0
		.amdhsa_kernarg_size 104
		.amdhsa_user_sgpr_count 2
		.amdhsa_user_sgpr_dispatch_ptr 0
		.amdhsa_user_sgpr_queue_ptr 0
		.amdhsa_user_sgpr_kernarg_segment_ptr 1
		.amdhsa_user_sgpr_dispatch_id 0
		.amdhsa_user_sgpr_kernarg_preload_length 0
		.amdhsa_user_sgpr_kernarg_preload_offset 0
		.amdhsa_user_sgpr_private_segment_size 0
		.amdhsa_uses_dynamic_stack 0
		.amdhsa_enable_private_segment 0
		.amdhsa_system_sgpr_workgroup_id_x 1
		.amdhsa_system_sgpr_workgroup_id_y 0
		.amdhsa_system_sgpr_workgroup_id_z 0
		.amdhsa_system_sgpr_workgroup_info 0
		.amdhsa_system_vgpr_workitem_id 0
		.amdhsa_next_free_vgpr 140
		.amdhsa_next_free_sgpr 32
		.amdhsa_accum_offset 140
		.amdhsa_reserve_vcc 1
		.amdhsa_float_round_mode_32 0
		.amdhsa_float_round_mode_16_64 0
		.amdhsa_float_denorm_mode_32 3
		.amdhsa_float_denorm_mode_16_64 3
		.amdhsa_dx10_clamp 1
		.amdhsa_ieee_mode 1
		.amdhsa_fp16_overflow 0
		.amdhsa_tg_split 0
		.amdhsa_exception_fp_ieee_invalid_op 0
		.amdhsa_exception_fp_denorm_src 0
		.amdhsa_exception_fp_ieee_div_zero 0
		.amdhsa_exception_fp_ieee_overflow 0
		.amdhsa_exception_fp_ieee_underflow 0
		.amdhsa_exception_fp_ieee_inexact 0
		.amdhsa_exception_int_div_zero 0
	.end_amdhsa_kernel
	.text
.Lfunc_end0:
	.size	fft_rtc_back_len528_factors_4_4_3_11_wgs_48_tpt_48_halfLds_dp_op_CI_CI_sbrr_dirReg, .Lfunc_end0-fft_rtc_back_len528_factors_4_4_3_11_wgs_48_tpt_48_halfLds_dp_op_CI_CI_sbrr_dirReg
                                        ; -- End function
	.section	.AMDGPU.csdata,"",@progbits
; Kernel info:
; codeLenInByte = 8412
; NumSgprs: 38
; NumVgprs: 140
; NumAgprs: 0
; TotalNumVgprs: 140
; ScratchSize: 0
; MemoryBound: 1
; FloatMode: 240
; IeeeMode: 1
; LDSByteSize: 0 bytes/workgroup (compile time only)
; SGPRBlocks: 4
; VGPRBlocks: 17
; NumSGPRsForWavesPerEU: 38
; NumVGPRsForWavesPerEU: 140
; AccumOffset: 140
; Occupancy: 3
; WaveLimiterHint : 1
; COMPUTE_PGM_RSRC2:SCRATCH_EN: 0
; COMPUTE_PGM_RSRC2:USER_SGPR: 2
; COMPUTE_PGM_RSRC2:TRAP_HANDLER: 0
; COMPUTE_PGM_RSRC2:TGID_X_EN: 1
; COMPUTE_PGM_RSRC2:TGID_Y_EN: 0
; COMPUTE_PGM_RSRC2:TGID_Z_EN: 0
; COMPUTE_PGM_RSRC2:TIDIG_COMP_CNT: 0
; COMPUTE_PGM_RSRC3_GFX90A:ACCUM_OFFSET: 34
; COMPUTE_PGM_RSRC3_GFX90A:TG_SPLIT: 0
	.text
	.p2alignl 6, 3212836864
	.fill 256, 4, 3212836864
	.type	__hip_cuid_82f4fc3999b2e684,@object ; @__hip_cuid_82f4fc3999b2e684
	.section	.bss,"aw",@nobits
	.globl	__hip_cuid_82f4fc3999b2e684
__hip_cuid_82f4fc3999b2e684:
	.byte	0                               ; 0x0
	.size	__hip_cuid_82f4fc3999b2e684, 1

	.ident	"AMD clang version 19.0.0git (https://github.com/RadeonOpenCompute/llvm-project roc-6.4.0 25133 c7fe45cf4b819c5991fe208aaa96edf142730f1d)"
	.section	".note.GNU-stack","",@progbits
	.addrsig
	.addrsig_sym __hip_cuid_82f4fc3999b2e684
	.amdgpu_metadata
---
amdhsa.kernels:
  - .agpr_count:     0
    .args:
      - .actual_access:  read_only
        .address_space:  global
        .offset:         0
        .size:           8
        .value_kind:     global_buffer
      - .offset:         8
        .size:           8
        .value_kind:     by_value
      - .actual_access:  read_only
        .address_space:  global
        .offset:         16
        .size:           8
        .value_kind:     global_buffer
      - .actual_access:  read_only
        .address_space:  global
        .offset:         24
        .size:           8
        .value_kind:     global_buffer
      - .actual_access:  read_only
        .address_space:  global
        .offset:         32
        .size:           8
        .value_kind:     global_buffer
      - .offset:         40
        .size:           8
        .value_kind:     by_value
      - .actual_access:  read_only
        .address_space:  global
        .offset:         48
        .size:           8
        .value_kind:     global_buffer
      - .actual_access:  read_only
        .address_space:  global
        .offset:         56
        .size:           8
        .value_kind:     global_buffer
      - .offset:         64
        .size:           4
        .value_kind:     by_value
      - .actual_access:  read_only
        .address_space:  global
        .offset:         72
        .size:           8
        .value_kind:     global_buffer
      - .actual_access:  read_only
        .address_space:  global
        .offset:         80
        .size:           8
        .value_kind:     global_buffer
      - .actual_access:  read_only
        .address_space:  global
        .offset:         88
        .size:           8
        .value_kind:     global_buffer
      - .actual_access:  write_only
        .address_space:  global
        .offset:         96
        .size:           8
        .value_kind:     global_buffer
    .group_segment_fixed_size: 0
    .kernarg_segment_align: 8
    .kernarg_segment_size: 104
    .language:       OpenCL C
    .language_version:
      - 2
      - 0
    .max_flat_workgroup_size: 48
    .name:           fft_rtc_back_len528_factors_4_4_3_11_wgs_48_tpt_48_halfLds_dp_op_CI_CI_sbrr_dirReg
    .private_segment_fixed_size: 0
    .sgpr_count:     38
    .sgpr_spill_count: 0
    .symbol:         fft_rtc_back_len528_factors_4_4_3_11_wgs_48_tpt_48_halfLds_dp_op_CI_CI_sbrr_dirReg.kd
    .uniform_work_group_size: 1
    .uses_dynamic_stack: false
    .vgpr_count:     140
    .vgpr_spill_count: 0
    .wavefront_size: 64
amdhsa.target:   amdgcn-amd-amdhsa--gfx950
amdhsa.version:
  - 1
  - 2
...

	.end_amdgpu_metadata
